;; amdgpu-corpus repo=ROCm/rocFFT kind=compiled arch=gfx906 opt=O3
	.text
	.amdgcn_target "amdgcn-amd-amdhsa--gfx906"
	.amdhsa_code_object_version 6
	.protected	fft_rtc_back_len420_factors_10_7_6_wgs_60_tpt_60_sp_op_CI_CI_sbrr_dirReg ; -- Begin function fft_rtc_back_len420_factors_10_7_6_wgs_60_tpt_60_sp_op_CI_CI_sbrr_dirReg
	.globl	fft_rtc_back_len420_factors_10_7_6_wgs_60_tpt_60_sp_op_CI_CI_sbrr_dirReg
	.p2align	8
	.type	fft_rtc_back_len420_factors_10_7_6_wgs_60_tpt_60_sp_op_CI_CI_sbrr_dirReg,@function
fft_rtc_back_len420_factors_10_7_6_wgs_60_tpt_60_sp_op_CI_CI_sbrr_dirReg: ; @fft_rtc_back_len420_factors_10_7_6_wgs_60_tpt_60_sp_op_CI_CI_sbrr_dirReg
; %bb.0:
	s_load_dwordx4 s[16:19], s[4:5], 0x18
	s_load_dwordx4 s[12:15], s[4:5], 0x0
	;; [unrolled: 1-line block ×3, first 2 shown]
	v_mul_u32_u24_e32 v1, 0x445, v0
	v_add_u32_sdwa v5, s6, v1 dst_sel:DWORD dst_unused:UNUSED_PAD src0_sel:DWORD src1_sel:WORD_1
	s_waitcnt lgkmcnt(0)
	s_load_dwordx2 s[20:21], s[16:17], 0x0
	s_load_dwordx2 s[2:3], s[18:19], 0x0
	v_cmp_lt_u64_e64 s[0:1], s[14:15], 2
	v_mov_b32_e32 v3, 0
	v_mov_b32_e32 v1, 0
	;; [unrolled: 1-line block ×3, first 2 shown]
	s_and_b64 vcc, exec, s[0:1]
	v_mov_b32_e32 v2, 0
	s_cbranch_vccnz .LBB0_8
; %bb.1:
	s_load_dwordx2 s[0:1], s[4:5], 0x10
	s_add_u32 s6, s18, 8
	s_addc_u32 s7, s19, 0
	s_add_u32 s22, s16, 8
	v_mov_b32_e32 v1, 0
	s_addc_u32 s23, s17, 0
	v_mov_b32_e32 v2, 0
	s_waitcnt lgkmcnt(0)
	s_add_u32 s24, s0, 8
	v_mov_b32_e32 v29, v2
	s_addc_u32 s25, s1, 0
	s_mov_b64 s[26:27], 1
	v_mov_b32_e32 v28, v1
.LBB0_2:                                ; =>This Inner Loop Header: Depth=1
	s_load_dwordx2 s[28:29], s[24:25], 0x0
                                        ; implicit-def: $vgpr30_vgpr31
	s_waitcnt lgkmcnt(0)
	v_or_b32_e32 v4, s29, v6
	v_cmp_ne_u64_e32 vcc, 0, v[3:4]
	s_and_saveexec_b64 s[0:1], vcc
	s_xor_b64 s[30:31], exec, s[0:1]
	s_cbranch_execz .LBB0_4
; %bb.3:                                ;   in Loop: Header=BB0_2 Depth=1
	v_cvt_f32_u32_e32 v4, s28
	v_cvt_f32_u32_e32 v7, s29
	s_sub_u32 s0, 0, s28
	s_subb_u32 s1, 0, s29
	v_mac_f32_e32 v4, 0x4f800000, v7
	v_rcp_f32_e32 v4, v4
	v_mul_f32_e32 v4, 0x5f7ffffc, v4
	v_mul_f32_e32 v7, 0x2f800000, v4
	v_trunc_f32_e32 v7, v7
	v_mac_f32_e32 v4, 0xcf800000, v7
	v_cvt_u32_f32_e32 v7, v7
	v_cvt_u32_f32_e32 v4, v4
	v_mul_lo_u32 v8, s0, v7
	v_mul_hi_u32 v9, s0, v4
	v_mul_lo_u32 v11, s1, v4
	v_mul_lo_u32 v10, s0, v4
	v_add_u32_e32 v8, v9, v8
	v_add_u32_e32 v8, v8, v11
	v_mul_hi_u32 v9, v4, v10
	v_mul_lo_u32 v11, v4, v8
	v_mul_hi_u32 v13, v4, v8
	v_mul_hi_u32 v12, v7, v10
	v_mul_lo_u32 v10, v7, v10
	v_mul_hi_u32 v14, v7, v8
	v_add_co_u32_e32 v9, vcc, v9, v11
	v_addc_co_u32_e32 v11, vcc, 0, v13, vcc
	v_mul_lo_u32 v8, v7, v8
	v_add_co_u32_e32 v9, vcc, v9, v10
	v_addc_co_u32_e32 v9, vcc, v11, v12, vcc
	v_addc_co_u32_e32 v10, vcc, 0, v14, vcc
	v_add_co_u32_e32 v8, vcc, v9, v8
	v_addc_co_u32_e32 v9, vcc, 0, v10, vcc
	v_add_co_u32_e32 v4, vcc, v4, v8
	v_addc_co_u32_e32 v7, vcc, v7, v9, vcc
	v_mul_lo_u32 v8, s0, v7
	v_mul_hi_u32 v9, s0, v4
	v_mul_lo_u32 v10, s1, v4
	v_mul_lo_u32 v11, s0, v4
	v_add_u32_e32 v8, v9, v8
	v_add_u32_e32 v8, v8, v10
	v_mul_lo_u32 v12, v4, v8
	v_mul_hi_u32 v13, v4, v11
	v_mul_hi_u32 v14, v4, v8
	;; [unrolled: 1-line block ×3, first 2 shown]
	v_mul_lo_u32 v11, v7, v11
	v_mul_hi_u32 v9, v7, v8
	v_add_co_u32_e32 v12, vcc, v13, v12
	v_addc_co_u32_e32 v13, vcc, 0, v14, vcc
	v_mul_lo_u32 v8, v7, v8
	v_add_co_u32_e32 v11, vcc, v12, v11
	v_addc_co_u32_e32 v10, vcc, v13, v10, vcc
	v_addc_co_u32_e32 v9, vcc, 0, v9, vcc
	v_add_co_u32_e32 v8, vcc, v10, v8
	v_addc_co_u32_e32 v9, vcc, 0, v9, vcc
	v_add_co_u32_e32 v4, vcc, v4, v8
	v_addc_co_u32_e32 v9, vcc, v7, v9, vcc
	v_mad_u64_u32 v[7:8], s[0:1], v5, v9, 0
	v_mul_hi_u32 v10, v5, v4
	v_add_co_u32_e32 v11, vcc, v10, v7
	v_addc_co_u32_e32 v12, vcc, 0, v8, vcc
	v_mad_u64_u32 v[7:8], s[0:1], v6, v4, 0
	v_mad_u64_u32 v[9:10], s[0:1], v6, v9, 0
	v_add_co_u32_e32 v4, vcc, v11, v7
	v_addc_co_u32_e32 v4, vcc, v12, v8, vcc
	v_addc_co_u32_e32 v7, vcc, 0, v10, vcc
	v_add_co_u32_e32 v4, vcc, v4, v9
	v_addc_co_u32_e32 v9, vcc, 0, v7, vcc
	v_mul_lo_u32 v10, s29, v4
	v_mul_lo_u32 v11, s28, v9
	v_mad_u64_u32 v[7:8], s[0:1], s28, v4, 0
	v_add3_u32 v8, v8, v11, v10
	v_sub_u32_e32 v10, v6, v8
	v_mov_b32_e32 v11, s29
	v_sub_co_u32_e32 v7, vcc, v5, v7
	v_subb_co_u32_e64 v10, s[0:1], v10, v11, vcc
	v_subrev_co_u32_e64 v11, s[0:1], s28, v7
	v_subbrev_co_u32_e64 v10, s[0:1], 0, v10, s[0:1]
	v_cmp_le_u32_e64 s[0:1], s29, v10
	v_cndmask_b32_e64 v12, 0, -1, s[0:1]
	v_cmp_le_u32_e64 s[0:1], s28, v11
	v_cndmask_b32_e64 v11, 0, -1, s[0:1]
	v_cmp_eq_u32_e64 s[0:1], s29, v10
	v_cndmask_b32_e64 v10, v12, v11, s[0:1]
	v_add_co_u32_e64 v11, s[0:1], 2, v4
	v_addc_co_u32_e64 v12, s[0:1], 0, v9, s[0:1]
	v_add_co_u32_e64 v13, s[0:1], 1, v4
	v_addc_co_u32_e64 v14, s[0:1], 0, v9, s[0:1]
	v_subb_co_u32_e32 v8, vcc, v6, v8, vcc
	v_cmp_ne_u32_e64 s[0:1], 0, v10
	v_cmp_le_u32_e32 vcc, s29, v8
	v_cndmask_b32_e64 v10, v14, v12, s[0:1]
	v_cndmask_b32_e64 v12, 0, -1, vcc
	v_cmp_le_u32_e32 vcc, s28, v7
	v_cndmask_b32_e64 v7, 0, -1, vcc
	v_cmp_eq_u32_e32 vcc, s29, v8
	v_cndmask_b32_e32 v7, v12, v7, vcc
	v_cmp_ne_u32_e32 vcc, 0, v7
	v_cndmask_b32_e64 v7, v13, v11, s[0:1]
	v_cndmask_b32_e32 v31, v9, v10, vcc
	v_cndmask_b32_e32 v30, v4, v7, vcc
.LBB0_4:                                ;   in Loop: Header=BB0_2 Depth=1
	s_andn2_saveexec_b64 s[0:1], s[30:31]
	s_cbranch_execz .LBB0_6
; %bb.5:                                ;   in Loop: Header=BB0_2 Depth=1
	v_cvt_f32_u32_e32 v4, s28
	s_sub_i32 s30, 0, s28
	v_mov_b32_e32 v31, v3
	v_rcp_iflag_f32_e32 v4, v4
	v_mul_f32_e32 v4, 0x4f7ffffe, v4
	v_cvt_u32_f32_e32 v4, v4
	v_mul_lo_u32 v7, s30, v4
	v_mul_hi_u32 v7, v4, v7
	v_add_u32_e32 v4, v4, v7
	v_mul_hi_u32 v4, v5, v4
	v_mul_lo_u32 v7, v4, s28
	v_add_u32_e32 v8, 1, v4
	v_sub_u32_e32 v7, v5, v7
	v_subrev_u32_e32 v9, s28, v7
	v_cmp_le_u32_e32 vcc, s28, v7
	v_cndmask_b32_e32 v7, v7, v9, vcc
	v_cndmask_b32_e32 v4, v4, v8, vcc
	v_add_u32_e32 v8, 1, v4
	v_cmp_le_u32_e32 vcc, s28, v7
	v_cndmask_b32_e32 v30, v4, v8, vcc
.LBB0_6:                                ;   in Loop: Header=BB0_2 Depth=1
	s_or_b64 exec, exec, s[0:1]
	v_mul_lo_u32 v4, v31, s28
	v_mul_lo_u32 v9, v30, s29
	v_mad_u64_u32 v[7:8], s[0:1], v30, s28, 0
	s_load_dwordx2 s[0:1], s[22:23], 0x0
	s_load_dwordx2 s[28:29], s[6:7], 0x0
	v_add3_u32 v4, v8, v9, v4
	v_sub_co_u32_e32 v5, vcc, v5, v7
	v_subb_co_u32_e32 v4, vcc, v6, v4, vcc
	s_waitcnt lgkmcnt(0)
	v_mul_lo_u32 v6, s0, v4
	v_mul_lo_u32 v7, s1, v5
	v_mad_u64_u32 v[1:2], s[0:1], s0, v5, v[1:2]
	v_mul_lo_u32 v4, s28, v4
	v_mul_lo_u32 v8, s29, v5
	v_mad_u64_u32 v[28:29], s[0:1], s28, v5, v[28:29]
	s_add_u32 s26, s26, 1
	s_addc_u32 s27, s27, 0
	s_add_u32 s6, s6, 8
	v_add3_u32 v29, v8, v29, v4
	s_addc_u32 s7, s7, 0
	v_mov_b32_e32 v4, s14
	s_add_u32 s22, s22, 8
	v_mov_b32_e32 v5, s15
	s_addc_u32 s23, s23, 0
	v_cmp_ge_u64_e32 vcc, s[26:27], v[4:5]
	s_add_u32 s24, s24, 8
	v_add3_u32 v2, v7, v2, v6
	s_addc_u32 s25, s25, 0
	s_cbranch_vccnz .LBB0_9
; %bb.7:                                ;   in Loop: Header=BB0_2 Depth=1
	v_mov_b32_e32 v5, v30
	v_mov_b32_e32 v6, v31
	s_branch .LBB0_2
.LBB0_8:
	v_mov_b32_e32 v29, v2
	v_mov_b32_e32 v31, v6
	;; [unrolled: 1-line block ×4, first 2 shown]
.LBB0_9:
	s_load_dwordx2 s[0:1], s[4:5], 0x28
	s_lshl_b64 s[14:15], s[14:15], 3
	s_add_u32 s4, s18, s14
	s_addc_u32 s5, s19, s15
                                        ; implicit-def: $vgpr32
	s_waitcnt lgkmcnt(0)
	v_cmp_gt_u64_e32 vcc, s[0:1], v[30:31]
	v_cmp_le_u64_e64 s[0:1], s[0:1], v[30:31]
	s_and_saveexec_b64 s[6:7], s[0:1]
	s_xor_b64 s[0:1], exec, s[6:7]
; %bb.10:
	s_mov_b32 s6, 0x4444445
	v_mul_hi_u32 v1, v0, s6
	v_mul_u32_u24_e32 v1, 60, v1
	v_sub_u32_e32 v32, v0, v1
                                        ; implicit-def: $vgpr0
                                        ; implicit-def: $vgpr1_vgpr2
; %bb.11:
	s_andn2_saveexec_b64 s[6:7], s[0:1]
	s_cbranch_execz .LBB0_13
; %bb.12:
	s_add_u32 s0, s16, s14
	s_mov_b32 s14, 0x4444445
	v_mul_hi_u32 v3, v0, s14
	s_addc_u32 s1, s17, s15
	s_load_dwordx2 s[0:1], s[0:1], 0x0
	v_mul_u32_u24_e32 v3, 60, v3
	v_sub_u32_e32 v32, v0, v3
	v_mad_u64_u32 v[3:4], s[14:15], s20, v32, 0
	s_waitcnt lgkmcnt(0)
	v_mul_lo_u32 v9, s1, v30
	v_mul_lo_u32 v10, s0, v31
	v_mad_u64_u32 v[5:6], s[0:1], s0, v30, 0
	v_mov_b32_e32 v0, v4
	v_mad_u64_u32 v[7:8], s[0:1], s21, v32, v[0:1]
	v_add3_u32 v6, v6, v10, v9
	v_lshlrev_b64 v[5:6], 3, v[5:6]
	v_mov_b32_e32 v4, v7
	v_mov_b32_e32 v0, s9
	v_add_co_u32_e64 v7, s[0:1], s8, v5
	v_add_u32_e32 v9, 60, v32
	v_addc_co_u32_e64 v8, s[0:1], v0, v6, s[0:1]
	v_mad_u64_u32 v[5:6], s[0:1], s20, v9, 0
	v_lshlrev_b64 v[0:1], 3, v[1:2]
	v_add_u32_e32 v10, 0xb4, v32
	v_add_co_u32_e64 v24, s[0:1], v7, v0
	v_mov_b32_e32 v2, v6
	v_addc_co_u32_e64 v25, s[0:1], v8, v1, s[0:1]
	v_lshlrev_b64 v[0:1], 3, v[3:4]
	v_mad_u64_u32 v[2:3], s[0:1], s21, v9, v[2:3]
	v_add_u32_e32 v7, 0x78, v32
	v_mad_u64_u32 v[3:4], s[0:1], s20, v7, 0
	v_add_co_u32_e64 v0, s[0:1], v24, v0
	v_mov_b32_e32 v6, v2
	v_mov_b32_e32 v2, v4
	v_addc_co_u32_e64 v1, s[0:1], v25, v1, s[0:1]
	v_mad_u64_u32 v[7:8], s[0:1], s21, v7, v[2:3]
	v_mad_u64_u32 v[8:9], s[0:1], s20, v10, 0
	v_lshlrev_b64 v[5:6], 3, v[5:6]
	v_mov_b32_e32 v4, v7
	v_add_co_u32_e64 v5, s[0:1], v24, v5
	v_lshlrev_b64 v[2:3], 3, v[3:4]
	v_mov_b32_e32 v4, v9
	v_addc_co_u32_e64 v6, s[0:1], v25, v6, s[0:1]
	v_mad_u64_u32 v[9:10], s[0:1], s21, v10, v[4:5]
	v_add_u32_e32 v12, 0xf0, v32
	v_mad_u64_u32 v[10:11], s[0:1], s20, v12, 0
	v_add_co_u32_e64 v2, s[0:1], v24, v2
	v_mov_b32_e32 v4, v11
	v_addc_co_u32_e64 v3, s[0:1], v25, v3, s[0:1]
	v_mad_u64_u32 v[11:12], s[0:1], s21, v12, v[4:5]
	v_add_u32_e32 v14, 0x12c, v32
	v_mad_u64_u32 v[12:13], s[0:1], s20, v14, 0
	v_lshlrev_b64 v[7:8], 3, v[8:9]
	v_add_u32_e32 v16, 0x168, v32
	v_add_co_u32_e64 v7, s[0:1], v24, v7
	v_mov_b32_e32 v4, v13
	v_addc_co_u32_e64 v8, s[0:1], v25, v8, s[0:1]
	v_mad_u64_u32 v[13:14], s[0:1], s21, v14, v[4:5]
	v_mad_u64_u32 v[14:15], s[0:1], s20, v16, 0
	v_lshlrev_b64 v[9:10], 3, v[10:11]
	v_lshlrev_b64 v[11:12], 3, v[12:13]
	v_add_co_u32_e64 v9, s[0:1], v24, v9
	v_mov_b32_e32 v4, v15
	v_addc_co_u32_e64 v10, s[0:1], v25, v10, s[0:1]
	v_mad_u64_u32 v[15:16], s[0:1], s21, v16, v[4:5]
	v_add_co_u32_e64 v11, s[0:1], v24, v11
	global_load_dwordx2 v[16:17], v[0:1], off
	global_load_dwordx2 v[18:19], v[5:6], off
	;; [unrolled: 1-line block ×4, first 2 shown]
	v_lshlrev_b64 v[0:1], 3, v[14:15]
	v_addc_co_u32_e64 v12, s[0:1], v25, v12, s[0:1]
	v_add_co_u32_e64 v0, s[0:1], v24, v0
	v_addc_co_u32_e64 v1, s[0:1], v25, v1, s[0:1]
	global_load_dwordx2 v[2:3], v[9:10], off
	global_load_dwordx2 v[4:5], v[11:12], off
	;; [unrolled: 1-line block ×3, first 2 shown]
	v_lshl_add_u32 v0, v32, 3, 0
	v_add_u32_e32 v1, 0x400, v0
	s_waitcnt vmcnt(5)
	ds_write2_b64 v0, v[16:17], v[18:19] offset1:60
	s_waitcnt vmcnt(3)
	ds_write2_b64 v0, v[20:21], v[22:23] offset0:120 offset1:180
	s_waitcnt vmcnt(1)
	ds_write2_b64 v1, v[2:3], v[4:5] offset0:112 offset1:172
	s_waitcnt vmcnt(0)
	ds_write_b64 v0, v[6:7] offset:2880
.LBB0_13:
	s_or_b64 exec, exec, s[6:7]
	v_lshl_add_u32 v33, v32, 3, 0
	v_add_u32_e32 v0, 0x400, v33
	v_add_u32_e32 v34, 0x800, v33
	s_waitcnt lgkmcnt(0)
	; wave barrier
	s_waitcnt lgkmcnt(0)
	ds_read2_b64 v[8:11], v33 offset0:84 offset1:126
	ds_read2_b64 v[12:15], v33 offset0:168 offset1:210
	;; [unrolled: 1-line block ×4, first 2 shown]
	ds_read2_b64 v[24:27], v33 offset1:42
	v_cmp_gt_u32_e64 s[0:1], 42, v32
	s_waitcnt lgkmcnt(3)
	v_sub_f32_e32 v1, v8, v12
	s_waitcnt lgkmcnt(2)
	v_sub_f32_e32 v39, v13, v17
	;; [unrolled: 2-line block ×3, first 2 shown]
	v_add_f32_e32 v36, v1, v2
	v_sub_f32_e32 v1, v12, v8
	v_sub_f32_e32 v2, v16, v20
	v_add_f32_e32 v2, v1, v2
	v_add_f32_e32 v1, v8, v20
	s_waitcnt lgkmcnt(0)
	v_fma_f32 v1, -0.5, v1, v24
	v_mov_b32_e32 v35, v1
	v_fmac_f32_e32 v35, 0x3f737871, v39
	v_sub_f32_e32 v40, v9, v21
	v_fmac_f32_e32 v1, 0xbf737871, v39
	v_fmac_f32_e32 v35, 0xbf167918, v40
	v_fmac_f32_e32 v1, 0x3f167918, v40
	v_fmac_f32_e32 v35, 0x3e9e377a, v2
	v_fmac_f32_e32 v1, 0x3e9e377a, v2
	v_sub_f32_e32 v2, v9, v13
	v_sub_f32_e32 v3, v21, v17
	v_add_f32_e32 v41, v2, v3
	v_sub_f32_e32 v2, v13, v9
	v_sub_f32_e32 v3, v17, v21
	v_add_f32_e32 v2, v2, v3
	v_add_f32_e32 v3, v9, v21
	v_fma_f32 v37, -0.5, v3, v25
	v_sub_f32_e32 v42, v12, v16
	v_mov_b32_e32 v38, v37
	v_fmac_f32_e32 v38, 0xbf737871, v42
	v_sub_f32_e32 v43, v8, v20
	v_fmac_f32_e32 v37, 0x3f737871, v42
	v_fmac_f32_e32 v38, 0x3f167918, v43
	v_fmac_f32_e32 v37, 0xbf167918, v43
	v_fmac_f32_e32 v38, 0x3e9e377a, v2
	v_fmac_f32_e32 v37, 0x3e9e377a, v2
	v_sub_f32_e32 v2, v10, v14
	v_sub_f32_e32 v3, v22, v18
	v_add_f32_e32 v44, v2, v3
	v_sub_f32_e32 v2, v14, v10
	v_sub_f32_e32 v3, v18, v22
	v_add_f32_e32 v2, v2, v3
	v_add_f32_e32 v3, v10, v22
	v_fma_f32 v3, -0.5, v3, v26
	v_sub_f32_e32 v46, v15, v19
	;; [unrolled: 17-line block ×3, first 2 shown]
	v_mov_b32_e32 v6, v5
	v_sub_f32_e32 v56, v10, v22
	v_fmac_f32_e32 v5, 0x3f737871, v53
	v_fmac_f32_e32 v5, 0xbf167918, v56
	;; [unrolled: 1-line block ×4, first 2 shown]
	v_mul_f32_e32 v48, 0xbf737871, v5
	v_mul_f32_e32 v51, 0xbe9e377a, v5
	v_fmac_f32_e32 v6, 0x3f167918, v56
	v_fmac_f32_e32 v48, 0xbe9e377a, v3
	;; [unrolled: 1-line block ×3, first 2 shown]
	v_add_f32_e32 v3, v15, v19
	v_fmac_f32_e32 v6, 0x3e9e377a, v2
	v_add_f32_e32 v2, v14, v18
	v_fma_f32 v60, -0.5, v3, v27
	v_fma_f32 v59, -0.5, v2, v26
	v_mov_b32_e32 v3, v60
	v_mov_b32_e32 v2, v59
	v_fmac_f32_e32 v3, 0xbf737871, v56
	v_fmac_f32_e32 v2, 0x3f737871, v47
	;; [unrolled: 1-line block ×6, first 2 shown]
	v_mul_f32_e32 v52, 0xbf167918, v3
	v_mul_f32_e32 v54, 0xbf4f1bbd, v3
	v_fmac_f32_e32 v52, 0xbf4f1bbd, v2
	v_fmac_f32_e32 v54, 0x3f167918, v2
	v_add_f32_e32 v2, v12, v16
	v_fma_f32 v58, -0.5, v2, v24
	v_add_f32_e32 v2, v13, v17
	v_fma_f32 v61, -0.5, v2, v25
	v_mov_b32_e32 v55, v58
	v_mov_b32_e32 v57, v61
	v_fmac_f32_e32 v55, 0x3f737871, v40
	v_fmac_f32_e32 v57, 0xbf737871, v43
	v_mul_f32_e32 v45, 0xbf737871, v6
	v_mul_f32_e32 v49, 0x3e9e377a, v6
	v_fmac_f32_e32 v55, 0x3f167918, v39
	v_fmac_f32_e32 v57, 0xbf167918, v42
	;; [unrolled: 1-line block ×6, first 2 shown]
	v_sub_f32_e32 v4, v1, v48
	v_sub_f32_e32 v6, v55, v52
	;; [unrolled: 1-line block ×6, first 2 shown]
	s_waitcnt lgkmcnt(0)
	; wave barrier
	s_and_saveexec_b64 s[6:7], s[0:1]
	s_cbranch_execz .LBB0_15
; %bb.14:
	v_mul_f32_e32 v62, 0x3f737871, v40
	v_mul_f32_e32 v40, 0x3f737871, v43
	;; [unrolled: 1-line block ×3, first 2 shown]
	v_add_f32_e32 v40, v61, v40
	v_mul_f32_e32 v41, 0x3e9e377a, v41
	v_mul_f32_e32 v43, 0x3f737871, v47
	v_add_f32_e32 v40, v42, v40
	v_add_f32_e32 v9, v25, v9
	v_mul_f32_e32 v46, 0x3f167918, v46
	v_add_f32_e32 v41, v41, v40
	v_sub_f32_e32 v40, v59, v43
	v_add_f32_e32 v9, v9, v13
	v_add_f32_e32 v8, v24, v8
	v_mul_f32_e32 v44, 0x3e9e377a, v44
	v_mul_f32_e32 v47, 0x3f737871, v56
	v_sub_f32_e32 v40, v40, v46
	v_add_f32_e32 v9, v9, v17
	v_add_f32_e32 v8, v8, v12
	v_mul_f32_e32 v53, 0x3f167918, v53
	v_add_f32_e32 v42, v44, v40
	v_add_f32_e32 v40, v60, v47
	;; [unrolled: 1-line block ×5, first 2 shown]
	v_mul_f32_e32 v39, 0x3f167918, v39
	v_mul_f32_e32 v50, 0x3e9e377a, v50
	v_add_f32_e32 v40, v53, v40
	v_add_f32_e32 v9, v9, v15
	v_sub_f32_e32 v11, v58, v62
	v_add_f32_e32 v20, v8, v20
	v_add_f32_e32 v8, v26, v10
	v_mul_f32_e32 v36, 0x3e9e377a, v36
	v_add_f32_e32 v44, v50, v40
	v_add_f32_e32 v9, v9, v19
	v_sub_f32_e32 v11, v11, v39
	v_add_f32_e32 v8, v8, v14
	v_mul_f32_e32 v43, 0x3f167918, v42
	s_mov_b32 s0, 0x3f4f1bbd
	v_add_f32_e32 v19, v9, v23
	v_add_f32_e32 v23, v36, v11
	v_mul_f32_e32 v11, 0x3f167918, v44
	v_add_f32_e32 v8, v8, v18
	v_fmac_f32_e32 v43, 0x3f4f1bbd, v44
	v_fma_f32 v25, v42, s0, -v11
	v_add_f32_e32 v18, v8, v22
	s_movk_i32 s0, 0x48
	v_sub_f32_e32 v9, v21, v19
	v_sub_f32_e32 v8, v20, v18
	v_add_f32_e32 v17, v41, v43
	v_add_f32_e32 v19, v21, v19
	v_add_f32_e32 v12, v1, v48
	v_add_f32_e32 v16, v23, v25
	v_add_f32_e32 v18, v20, v18
	v_mad_u32_u24 v1, v32, s0, v33
	v_sub_f32_e32 v40, v41, v43
	v_sub_f32_e32 v39, v23, v25
	v_add_f32_e32 v11, v57, v54
	v_add_f32_e32 v13, v37, v51
	;; [unrolled: 1-line block ×5, first 2 shown]
	ds_write2_b64 v1, v[18:19], v[16:17] offset1:1
	ds_write2_b64 v1, v[14:15], v[12:13] offset0:2 offset1:3
	ds_write2_b64 v1, v[10:11], v[8:9] offset0:4 offset1:5
	;; [unrolled: 1-line block ×4, first 2 shown]
.LBB0_15:
	s_or_b64 exec, exec, s[6:7]
	s_movk_i32 s0, 0xcd
	v_mul_lo_u16_sdwa v1, v32, s0 dst_sel:DWORD dst_unused:UNUSED_PAD src0_sel:BYTE_0 src1_sel:DWORD
	v_lshrrev_b16_e32 v39, 11, v1
	v_mul_lo_u16_e32 v1, 10, v39
	v_sub_u16_e32 v40, v32, v1
	v_mov_b32_e32 v1, 6
	v_mul_u32_u24_sdwa v1, v40, v1 dst_sel:DWORD dst_unused:UNUSED_PAD src0_sel:BYTE_0 src1_sel:DWORD
	v_lshlrev_b32_e32 v1, 3, v1
	s_load_dwordx2 s[4:5], s[4:5], 0x0
	s_waitcnt lgkmcnt(0)
	; wave barrier
	s_waitcnt lgkmcnt(0)
	global_load_dwordx4 v[8:11], v1, s[12:13]
	global_load_dwordx4 v[12:15], v1, s[12:13] offset:16
	global_load_dwordx4 v[16:19], v1, s[12:13] offset:32
	ds_read2_b64 v[20:23], v33 offset1:60
	ds_read2_b64 v[24:27], v33 offset0:120 offset1:180
	ds_read2_b64 v[35:38], v0 offset0:112 offset1:172
	ds_read_b64 v[0:1], v33 offset:2880
	s_mov_b32 s0, 0xbf5ff5aa
	s_mov_b32 s1, 0x3f3bfb3b
	;; [unrolled: 1-line block ×3, first 2 shown]
	s_waitcnt lgkmcnt(0)
	; wave barrier
	s_waitcnt vmcnt(2) lgkmcnt(0)
	v_mul_f32_e32 v41, v9, v23
	v_mul_f32_e32 v9, v9, v22
	v_mul_f32_e32 v42, v11, v25
	s_waitcnt vmcnt(0)
	v_mul_f32_e32 v45, v17, v38
	v_mul_f32_e32 v46, v19, v1
	;; [unrolled: 1-line block ×9, first 2 shown]
	v_fmac_f32_e32 v41, v8, v22
	v_fma_f32 v8, v8, v23, -v9
	v_fmac_f32_e32 v42, v10, v24
	v_fmac_f32_e32 v45, v16, v37
	;; [unrolled: 1-line block ×3, first 2 shown]
	v_fma_f32 v0, v18, v1, -v19
	v_fma_f32 v9, v10, v25, -v11
	v_fmac_f32_e32 v43, v12, v26
	v_fma_f32 v10, v12, v27, -v13
	v_fmac_f32_e32 v44, v14, v35
	v_fma_f32 v11, v14, v36, -v15
	v_fma_f32 v12, v16, v38, -v17
	v_add_f32_e32 v1, v41, v46
	v_add_f32_e32 v13, v8, v0
	v_sub_f32_e32 v0, v8, v0
	v_add_f32_e32 v8, v42, v45
	v_add_f32_e32 v15, v9, v12
	v_sub_f32_e32 v16, v42, v45
	v_sub_f32_e32 v9, v9, v12
	v_add_f32_e32 v12, v43, v44
	v_add_f32_e32 v17, v10, v11
	v_sub_f32_e32 v18, v44, v43
	v_sub_f32_e32 v10, v11, v10
	v_add_f32_e32 v11, v8, v1
	v_sub_f32_e32 v14, v41, v46
	v_add_f32_e32 v19, v15, v13
	v_sub_f32_e32 v22, v8, v1
	v_sub_f32_e32 v24, v12, v8
	v_add_f32_e32 v8, v18, v16
	v_add_f32_e32 v11, v12, v11
	v_sub_f32_e32 v23, v15, v13
	v_sub_f32_e32 v1, v1, v12
	;; [unrolled: 1-line block ×4, first 2 shown]
	v_add_f32_e32 v25, v10, v9
	v_sub_f32_e32 v26, v18, v16
	v_sub_f32_e32 v27, v10, v9
	;; [unrolled: 1-line block ×4, first 2 shown]
	v_add_f32_e32 v12, v17, v19
	v_add_f32_e32 v14, v8, v14
	;; [unrolled: 1-line block ×3, first 2 shown]
	v_sub_f32_e32 v10, v0, v10
	v_sub_f32_e32 v35, v9, v0
	v_add_f32_e32 v0, v25, v0
	v_mul_f32_e32 v1, 0x3f4a47b2, v1
	v_mul_f32_e32 v13, 0x3f4a47b2, v13
	;; [unrolled: 1-line block ×6, first 2 shown]
	v_add_f32_e32 v9, v12, v21
	v_mov_b32_e32 v21, v8
	v_mul_f32_e32 v27, 0xbf5ff5aa, v16
	v_fma_f32 v17, v22, s1, -v17
	v_fma_f32 v19, v23, s1, -v19
	;; [unrolled: 1-line block ×3, first 2 shown]
	v_mov_b32_e32 v22, v9
	v_fmac_f32_e32 v21, 0xbf955555, v11
	v_fma_f32 v11, v23, s6, -v13
	v_fma_f32 v23, v16, s0, -v25
	;; [unrolled: 1-line block ×3, first 2 shown]
	s_mov_b32 s0, 0x3eae86e6
	v_mul_f32_e32 v36, 0xbf5ff5aa, v35
	v_fmac_f32_e32 v1, 0x3d64c772, v24
	v_fmac_f32_e32 v22, 0xbf955555, v12
	v_fma_f32 v24, v18, s0, -v27
	v_fmac_f32_e32 v13, 0x3d64c772, v15
	v_fmac_f32_e32 v25, 0xbeae86e6, v18
	v_fma_f32 v18, v10, s0, -v36
	v_add_f32_e32 v1, v1, v21
	v_add_f32_e32 v17, v17, v21
	;; [unrolled: 1-line block ×5, first 2 shown]
	v_fmac_f32_e32 v23, 0xbee1c552, v14
	v_fmac_f32_e32 v16, 0xbee1c552, v0
	;; [unrolled: 1-line block ×4, first 2 shown]
	v_add_f32_e32 v27, v13, v22
	v_fmac_f32_e32 v25, 0xbee1c552, v14
	v_fmac_f32_e32 v18, 0xbee1c552, v0
	v_sub_f32_e32 v13, v21, v24
	v_sub_f32_e32 v14, v17, v16
	v_add_f32_e32 v15, v23, v19
	v_add_f32_e32 v16, v16, v17
	v_sub_f32_e32 v17, v19, v23
	v_add_f32_e32 v19, v24, v21
	v_mov_b32_e32 v21, 3
	v_fmac_f32_e32 v26, 0xbee1c552, v0
	v_add_f32_e32 v12, v18, v20
	v_sub_f32_e32 v18, v20, v18
	v_mul_u32_u24_e32 v20, 0x230, v39
	v_lshlrev_b32_sdwa v21, v21, v40 dst_sel:DWORD dst_unused:UNUSED_PAD src0_sel:DWORD src1_sel:BYTE_0
	v_add_f32_e32 v10, v26, v1
	v_sub_f32_e32 v11, v27, v25
	v_add3_u32 v20, 0, v20, v21
	v_sub_f32_e32 v0, v1, v26
	v_add_f32_e32 v1, v25, v27
	ds_write2_b64 v20, v[8:9], v[10:11] offset1:10
	ds_write2_b64 v20, v[12:13], v[14:15] offset0:20 offset1:30
	ds_write2_b64 v20, v[16:17], v[18:19] offset0:40 offset1:50
	ds_write_b64 v20, v[0:1] offset:480
	s_waitcnt lgkmcnt(0)
	; wave barrier
	s_waitcnt lgkmcnt(0)
	ds_read2_b64 v[12:15], v33 offset1:70
	ds_read2_b64 v[20:23], v33 offset0:140 offset1:210
	ds_read2_b64 v[16:19], v34 offset0:24 offset1:94
	v_cmp_gt_u32_e64 s[0:1], 10, v32
                                        ; implicit-def: $vgpr11
	s_and_saveexec_b64 s[6:7], s[0:1]
	s_cbranch_execz .LBB0_17
; %bb.16:
	v_add_u32_e32 v4, 0x400, v33
	v_add_u32_e32 v8, 0x800, v33
	ds_read2_b64 v[0:3], v33 offset0:60 offset1:130
	ds_read2_b64 v[4:7], v4 offset0:72 offset1:142
	;; [unrolled: 1-line block ×3, first 2 shown]
.LBB0_17:
	s_or_b64 exec, exec, s[6:7]
	v_mul_u32_u24_e32 v24, 5, v32
	v_lshlrev_b32_e32 v24, 3, v24
	global_load_dwordx4 v[34:37], v24, s[12:13] offset:480
	global_load_dwordx4 v[38:41], v24, s[12:13] offset:496
	global_load_dwordx2 v[25:26], v24, s[12:13] offset:512
	v_add_u32_e32 v24, 0x800, v33
	s_waitcnt lgkmcnt(0)
	; wave barrier
	s_waitcnt vmcnt(2) lgkmcnt(0)
	v_mul_f32_e32 v27, v35, v15
	v_mul_f32_e32 v35, v35, v14
	;; [unrolled: 1-line block ×3, first 2 shown]
	s_waitcnt vmcnt(1)
	v_mul_f32_e32 v43, v39, v23
	v_mul_f32_e32 v39, v39, v22
	;; [unrolled: 1-line block ×4, first 2 shown]
	s_waitcnt vmcnt(0)
	v_mul_f32_e32 v45, v26, v19
	v_mul_f32_e32 v26, v26, v18
	v_mul_f32_e32 v37, v37, v20
	v_fmac_f32_e32 v27, v34, v14
	v_fma_f32 v34, v34, v15, -v35
	v_fmac_f32_e32 v42, v36, v20
	v_fma_f32 v15, v38, v23, -v39
	;; [unrolled: 2-line block ×3, first 2 shown]
	v_fma_f32 v17, v25, v19, -v26
	v_fma_f32 v14, v36, v21, -v37
	v_fmac_f32_e32 v43, v38, v22
	v_fmac_f32_e32 v45, v25, v18
	v_add_f32_e32 v19, v42, v44
	v_sub_f32_e32 v26, v15, v17
	v_add_f32_e32 v35, v34, v15
	v_add_f32_e32 v15, v15, v17
	;; [unrolled: 1-line block ×3, first 2 shown]
	v_sub_f32_e32 v20, v14, v16
	v_add_f32_e32 v21, v13, v14
	v_add_f32_e32 v14, v14, v16
	v_add_f32_e32 v23, v27, v43
	v_add_f32_e32 v25, v43, v45
	v_sub_f32_e32 v36, v43, v45
	v_fma_f32 v19, -0.5, v19, v12
	v_fmac_f32_e32 v34, -0.5, v15
	v_add_f32_e32 v18, v18, v44
	v_add_f32_e32 v16, v21, v16
	v_fma_f32 v21, -0.5, v14, v13
	v_add_f32_e32 v14, v23, v45
	v_fmac_f32_e32 v27, -0.5, v25
	v_mov_b32_e32 v23, v19
	v_mov_b32_e32 v37, v34
	v_fmac_f32_e32 v34, 0xbf5db3d7, v36
	v_sub_f32_e32 v22, v42, v44
	v_add_f32_e32 v17, v35, v17
	v_fmac_f32_e32 v19, 0x3f5db3d7, v20
	v_mov_b32_e32 v25, v21
	v_mov_b32_e32 v35, v27
	v_fmac_f32_e32 v27, 0x3f5db3d7, v26
	v_add_f32_e32 v12, v18, v14
	v_sub_f32_e32 v14, v18, v14
	v_fmac_f32_e32 v23, 0xbf5db3d7, v20
	v_fmac_f32_e32 v37, 0x3f5db3d7, v36
	v_mul_f32_e32 v18, 0xbf5db3d7, v34
	v_mul_f32_e32 v20, -0.5, v34
	v_fmac_f32_e32 v21, 0xbf5db3d7, v22
	v_fmac_f32_e32 v25, 0x3f5db3d7, v22
	;; [unrolled: 1-line block ×3, first 2 shown]
	v_mul_f32_e32 v22, 0xbf5db3d7, v37
	v_fmac_f32_e32 v18, -0.5, v27
	v_mul_f32_e32 v26, 0.5, v37
	v_fmac_f32_e32 v20, 0x3f5db3d7, v27
	v_add_f32_e32 v13, v16, v17
	v_sub_f32_e32 v15, v16, v17
	v_fmac_f32_e32 v22, 0.5, v35
	v_add_f32_e32 v16, v19, v18
	v_fmac_f32_e32 v26, 0x3f5db3d7, v35
	v_add_f32_e32 v17, v21, v20
	v_sub_f32_e32 v18, v19, v18
	v_sub_f32_e32 v19, v21, v20
	v_add_f32_e32 v20, v23, v22
	v_add_f32_e32 v21, v25, v26
	v_sub_f32_e32 v22, v23, v22
	v_sub_f32_e32 v23, v25, v26
	ds_write2_b64 v33, v[16:17], v[14:15] offset0:140 offset1:210
	ds_write2_b64 v33, v[12:13], v[20:21] offset1:70
	ds_write2_b64 v24, v[22:23], v[18:19] offset0:24 offset1:94
	s_and_saveexec_b64 s[6:7], s[0:1]
	s_cbranch_execz .LBB0_19
; %bb.18:
	v_add_u32_e32 v12, 60, v32
	v_add_u32_e32 v13, -10, v32
	v_cndmask_b32_e64 v12, v13, v12, s[0:1]
	v_mul_i32_i24_e32 v12, 5, v12
	v_mov_b32_e32 v13, 0
	v_lshlrev_b64 v[12:13], 3, v[12:13]
	v_mov_b32_e32 v14, s13
	v_add_co_u32_e64 v20, s[0:1], s12, v12
	v_addc_co_u32_e64 v21, s[0:1], v14, v13, s[0:1]
	global_load_dwordx4 v[12:15], v[20:21], off offset:480
	global_load_dwordx4 v[16:19], v[20:21], off offset:496
	global_load_dwordx2 v[22:23], v[20:21], off offset:512
	v_add_u32_e32 v20, 0x400, v33
	s_waitcnt vmcnt(2)
	v_mul_f32_e32 v21, v4, v15
	s_waitcnt vmcnt(1)
	v_mul_f32_e32 v25, v8, v19
	v_mul_f32_e32 v15, v5, v15
	;; [unrolled: 1-line block ×4, first 2 shown]
	s_waitcnt vmcnt(0)
	v_mul_f32_e32 v34, v11, v23
	v_mul_f32_e32 v17, v6, v17
	;; [unrolled: 1-line block ×5, first 2 shown]
	v_fma_f32 v5, v5, v14, -v21
	v_fma_f32 v9, v9, v18, -v25
	v_fmac_f32_e32 v15, v4, v14
	v_fmac_f32_e32 v26, v2, v12
	;; [unrolled: 1-line block ×4, first 2 shown]
	v_fma_f32 v2, v7, v16, -v17
	v_fma_f32 v4, v11, v22, -v23
	v_fmac_f32_e32 v19, v8, v18
	v_fma_f32 v3, v3, v12, -v13
	v_add_f32_e32 v6, v5, v9
	v_add_f32_e32 v8, v27, v34
	;; [unrolled: 1-line block ×3, first 2 shown]
	v_sub_f32_e32 v7, v15, v19
	v_sub_f32_e32 v10, v2, v4
	;; [unrolled: 1-line block ×3, first 2 shown]
	v_add_f32_e32 v13, v1, v5
	v_add_f32_e32 v2, v3, v2
	;; [unrolled: 1-line block ×5, first 2 shown]
	v_fma_f32 v6, -0.5, v6, v1
	v_fma_f32 v8, -0.5, v8, v26
	;; [unrolled: 1-line block ×3, first 2 shown]
	v_sub_f32_e32 v5, v5, v9
	v_add_f32_e32 v3, v13, v9
	v_add_f32_e32 v2, v2, v4
	v_fma_f32 v9, -0.5, v14, v0
	v_add_f32_e32 v4, v15, v19
	v_add_f32_e32 v13, v16, v34
	v_mov_b32_e32 v14, v6
	v_mov_b32_e32 v15, v8
	;; [unrolled: 1-line block ×3, first 2 shown]
	v_fmac_f32_e32 v11, 0x3f5db3d7, v12
	v_fmac_f32_e32 v6, 0x3f5db3d7, v7
	;; [unrolled: 1-line block ×6, first 2 shown]
	v_mul_f32_e32 v7, 0.5, v11
	v_mul_f32_e32 v10, 0xbf5db3d7, v11
	v_mov_b32_e32 v17, v9
	v_fmac_f32_e32 v9, 0xbf5db3d7, v5
	v_mul_f32_e32 v11, -0.5, v16
	v_fmac_f32_e32 v7, 0x3f5db3d7, v8
	v_mul_f32_e32 v12, 0xbf5db3d7, v16
	v_fmac_f32_e32 v10, 0.5, v8
	v_sub_f32_e32 v1, v3, v2
	v_add_f32_e32 v3, v3, v2
	v_add_f32_e32 v2, v4, v13
	v_fmac_f32_e32 v17, 0x3f5db3d7, v5
	v_fmac_f32_e32 v11, 0x3f5db3d7, v15
	v_sub_f32_e32 v5, v6, v7
	v_fmac_f32_e32 v12, -0.5, v15
	v_add_f32_e32 v7, v6, v7
	v_add_f32_e32 v6, v9, v10
	v_sub_f32_e32 v0, v4, v13
	v_sub_f32_e32 v4, v9, v10
	;; [unrolled: 1-line block ×4, first 2 shown]
	v_add_f32_e32 v11, v14, v11
	v_add_f32_e32 v10, v17, v12
	ds_write2_b64 v33, v[2:3], v[6:7] offset0:60 offset1:130
	ds_write2_b64 v20, v[10:11], v[0:1] offset0:72 offset1:142
	;; [unrolled: 1-line block ×3, first 2 shown]
.LBB0_19:
	s_or_b64 exec, exec, s[6:7]
	s_waitcnt lgkmcnt(0)
	; wave barrier
	s_waitcnt lgkmcnt(0)
	s_and_saveexec_b64 s[0:1], vcc
	s_cbranch_execz .LBB0_21
; %bb.20:
	v_mul_lo_u32 v2, s5, v30
	v_mul_lo_u32 v3, s4, v31
	v_mad_u64_u32 v[6:7], s[0:1], s4, v30, 0
	v_mad_u64_u32 v[4:5], s[0:1], s2, v32, 0
	v_add3_u32 v7, v7, v3, v2
	v_lshlrev_b64 v[6:7], 3, v[6:7]
	v_mov_b32_e32 v8, s11
	v_add_co_u32_e32 v9, vcc, s10, v6
	v_addc_co_u32_e32 v8, vcc, v8, v7, vcc
	v_lshlrev_b64 v[6:7], 3, v[28:29]
	v_mov_b32_e32 v0, v5
	v_add_co_u32_e32 v11, vcc, v9, v6
	v_addc_co_u32_e32 v12, vcc, v8, v7, vcc
	v_add_u32_e32 v8, 60, v32
	v_mad_u64_u32 v[0:1], s[0:1], s3, v32, v[0:1]
	v_mad_u64_u32 v[6:7], s[0:1], s2, v8, 0
	v_lshl_add_u32 v10, v32, 3, 0
	v_mov_b32_e32 v5, v0
	ds_read2_b64 v[0:3], v10 offset1:60
	v_mad_u64_u32 v[7:8], s[0:1], s3, v8, v[7:8]
	v_add_u32_e32 v13, 0x78, v32
	v_lshlrev_b64 v[4:5], 3, v[4:5]
	v_mad_u64_u32 v[8:9], s[0:1], s2, v13, 0
	v_add_co_u32_e32 v4, vcc, v11, v4
	v_addc_co_u32_e32 v5, vcc, v12, v5, vcc
	s_waitcnt lgkmcnt(0)
	global_store_dwordx2 v[4:5], v[0:1], off
	v_mov_b32_e32 v4, v9
	v_mad_u64_u32 v[4:5], s[0:1], s3, v13, v[4:5]
	v_lshlrev_b64 v[0:1], 3, v[6:7]
	v_add_u32_e32 v13, 0xf0, v32
	v_mov_b32_e32 v9, v4
	v_lshlrev_b64 v[4:5], 3, v[8:9]
	v_add_u32_e32 v8, 0xb4, v32
	v_mad_u64_u32 v[6:7], s[0:1], s2, v8, 0
	v_add_co_u32_e32 v0, vcc, v11, v0
	v_addc_co_u32_e32 v1, vcc, v12, v1, vcc
	global_store_dwordx2 v[0:1], v[2:3], off
	ds_read2_b64 v[0:3], v10 offset0:120 offset1:180
	v_mad_u64_u32 v[7:8], s[0:1], s3, v8, v[7:8]
	v_mad_u64_u32 v[8:9], s[0:1], s2, v13, 0
	v_add_co_u32_e32 v4, vcc, v11, v4
	v_addc_co_u32_e32 v5, vcc, v12, v5, vcc
	s_waitcnt lgkmcnt(0)
	global_store_dwordx2 v[4:5], v[0:1], off
	v_mov_b32_e32 v4, v9
	v_mad_u64_u32 v[4:5], s[0:1], s3, v13, v[4:5]
	v_lshlrev_b64 v[0:1], 3, v[6:7]
	v_add_u32_e32 v13, 0x168, v32
	v_mov_b32_e32 v9, v4
	v_lshlrev_b64 v[4:5], 3, v[8:9]
	v_add_u32_e32 v8, 0x12c, v32
	v_mad_u64_u32 v[6:7], s[0:1], s2, v8, 0
	v_add_co_u32_e32 v0, vcc, v11, v0
	v_addc_co_u32_e32 v1, vcc, v12, v1, vcc
	global_store_dwordx2 v[0:1], v[2:3], off
	v_add_u32_e32 v0, 0x400, v10
	ds_read2_b64 v[0:3], v0 offset0:112 offset1:172
	v_mad_u64_u32 v[7:8], s[0:1], s3, v8, v[7:8]
	v_mad_u64_u32 v[8:9], s[0:1], s2, v13, 0
	v_add_co_u32_e32 v4, vcc, v11, v4
	v_addc_co_u32_e32 v5, vcc, v12, v5, vcc
	s_waitcnt lgkmcnt(0)
	global_store_dwordx2 v[4:5], v[0:1], off
	v_mov_b32_e32 v4, v9
	v_lshlrev_b64 v[0:1], 3, v[6:7]
	v_mad_u64_u32 v[4:5], s[0:1], s3, v13, v[4:5]
	v_add_co_u32_e32 v0, vcc, v11, v0
	v_addc_co_u32_e32 v1, vcc, v12, v1, vcc
	global_store_dwordx2 v[0:1], v[2:3], off
	v_mov_b32_e32 v9, v4
	ds_read_b64 v[0:1], v10 offset:2880
	v_lshlrev_b64 v[2:3], 3, v[8:9]
	v_add_co_u32_e32 v2, vcc, v11, v2
	v_addc_co_u32_e32 v3, vcc, v12, v3, vcc
	s_waitcnt lgkmcnt(0)
	global_store_dwordx2 v[2:3], v[0:1], off
.LBB0_21:
	s_endpgm
	.section	.rodata,"a",@progbits
	.p2align	6, 0x0
	.amdhsa_kernel fft_rtc_back_len420_factors_10_7_6_wgs_60_tpt_60_sp_op_CI_CI_sbrr_dirReg
		.amdhsa_group_segment_fixed_size 0
		.amdhsa_private_segment_fixed_size 0
		.amdhsa_kernarg_size 104
		.amdhsa_user_sgpr_count 6
		.amdhsa_user_sgpr_private_segment_buffer 1
		.amdhsa_user_sgpr_dispatch_ptr 0
		.amdhsa_user_sgpr_queue_ptr 0
		.amdhsa_user_sgpr_kernarg_segment_ptr 1
		.amdhsa_user_sgpr_dispatch_id 0
		.amdhsa_user_sgpr_flat_scratch_init 0
		.amdhsa_user_sgpr_private_segment_size 0
		.amdhsa_uses_dynamic_stack 0
		.amdhsa_system_sgpr_private_segment_wavefront_offset 0
		.amdhsa_system_sgpr_workgroup_id_x 1
		.amdhsa_system_sgpr_workgroup_id_y 0
		.amdhsa_system_sgpr_workgroup_id_z 0
		.amdhsa_system_sgpr_workgroup_info 0
		.amdhsa_system_vgpr_workitem_id 0
		.amdhsa_next_free_vgpr 63
		.amdhsa_next_free_sgpr 32
		.amdhsa_reserve_vcc 1
		.amdhsa_reserve_flat_scratch 0
		.amdhsa_float_round_mode_32 0
		.amdhsa_float_round_mode_16_64 0
		.amdhsa_float_denorm_mode_32 3
		.amdhsa_float_denorm_mode_16_64 3
		.amdhsa_dx10_clamp 1
		.amdhsa_ieee_mode 1
		.amdhsa_fp16_overflow 0
		.amdhsa_exception_fp_ieee_invalid_op 0
		.amdhsa_exception_fp_denorm_src 0
		.amdhsa_exception_fp_ieee_div_zero 0
		.amdhsa_exception_fp_ieee_overflow 0
		.amdhsa_exception_fp_ieee_underflow 0
		.amdhsa_exception_fp_ieee_inexact 0
		.amdhsa_exception_int_div_zero 0
	.end_amdhsa_kernel
	.text
.Lfunc_end0:
	.size	fft_rtc_back_len420_factors_10_7_6_wgs_60_tpt_60_sp_op_CI_CI_sbrr_dirReg, .Lfunc_end0-fft_rtc_back_len420_factors_10_7_6_wgs_60_tpt_60_sp_op_CI_CI_sbrr_dirReg
                                        ; -- End function
	.section	.AMDGPU.csdata,"",@progbits
; Kernel info:
; codeLenInByte = 5248
; NumSgprs: 36
; NumVgprs: 63
; ScratchSize: 0
; MemoryBound: 0
; FloatMode: 240
; IeeeMode: 1
; LDSByteSize: 0 bytes/workgroup (compile time only)
; SGPRBlocks: 4
; VGPRBlocks: 15
; NumSGPRsForWavesPerEU: 36
; NumVGPRsForWavesPerEU: 63
; Occupancy: 4
; WaveLimiterHint : 1
; COMPUTE_PGM_RSRC2:SCRATCH_EN: 0
; COMPUTE_PGM_RSRC2:USER_SGPR: 6
; COMPUTE_PGM_RSRC2:TRAP_HANDLER: 0
; COMPUTE_PGM_RSRC2:TGID_X_EN: 1
; COMPUTE_PGM_RSRC2:TGID_Y_EN: 0
; COMPUTE_PGM_RSRC2:TGID_Z_EN: 0
; COMPUTE_PGM_RSRC2:TIDIG_COMP_CNT: 0
	.type	__hip_cuid_53bf1a1827653449,@object ; @__hip_cuid_53bf1a1827653449
	.section	.bss,"aw",@nobits
	.globl	__hip_cuid_53bf1a1827653449
__hip_cuid_53bf1a1827653449:
	.byte	0                               ; 0x0
	.size	__hip_cuid_53bf1a1827653449, 1

	.ident	"AMD clang version 19.0.0git (https://github.com/RadeonOpenCompute/llvm-project roc-6.4.0 25133 c7fe45cf4b819c5991fe208aaa96edf142730f1d)"
	.section	".note.GNU-stack","",@progbits
	.addrsig
	.addrsig_sym __hip_cuid_53bf1a1827653449
	.amdgpu_metadata
---
amdhsa.kernels:
  - .args:
      - .actual_access:  read_only
        .address_space:  global
        .offset:         0
        .size:           8
        .value_kind:     global_buffer
      - .offset:         8
        .size:           8
        .value_kind:     by_value
      - .actual_access:  read_only
        .address_space:  global
        .offset:         16
        .size:           8
        .value_kind:     global_buffer
      - .actual_access:  read_only
        .address_space:  global
        .offset:         24
        .size:           8
        .value_kind:     global_buffer
      - .actual_access:  read_only
        .address_space:  global
        .offset:         32
        .size:           8
        .value_kind:     global_buffer
      - .offset:         40
        .size:           8
        .value_kind:     by_value
      - .actual_access:  read_only
        .address_space:  global
        .offset:         48
        .size:           8
        .value_kind:     global_buffer
      - .actual_access:  read_only
        .address_space:  global
        .offset:         56
        .size:           8
        .value_kind:     global_buffer
      - .offset:         64
        .size:           4
        .value_kind:     by_value
      - .actual_access:  read_only
        .address_space:  global
        .offset:         72
        .size:           8
        .value_kind:     global_buffer
      - .actual_access:  read_only
        .address_space:  global
        .offset:         80
        .size:           8
        .value_kind:     global_buffer
      - .actual_access:  read_only
        .address_space:  global
        .offset:         88
        .size:           8
        .value_kind:     global_buffer
      - .actual_access:  write_only
        .address_space:  global
        .offset:         96
        .size:           8
        .value_kind:     global_buffer
    .group_segment_fixed_size: 0
    .kernarg_segment_align: 8
    .kernarg_segment_size: 104
    .language:       OpenCL C
    .language_version:
      - 2
      - 0
    .max_flat_workgroup_size: 60
    .name:           fft_rtc_back_len420_factors_10_7_6_wgs_60_tpt_60_sp_op_CI_CI_sbrr_dirReg
    .private_segment_fixed_size: 0
    .sgpr_count:     36
    .sgpr_spill_count: 0
    .symbol:         fft_rtc_back_len420_factors_10_7_6_wgs_60_tpt_60_sp_op_CI_CI_sbrr_dirReg.kd
    .uniform_work_group_size: 1
    .uses_dynamic_stack: false
    .vgpr_count:     63
    .vgpr_spill_count: 0
    .wavefront_size: 64
amdhsa.target:   amdgcn-amd-amdhsa--gfx906
amdhsa.version:
  - 1
  - 2
...

	.end_amdgpu_metadata
